;; amdgpu-corpus repo=ROCm/rocFFT kind=compiled arch=gfx950 opt=O3
	.text
	.amdgcn_target "amdgcn-amd-amdhsa--gfx950"
	.amdhsa_code_object_version 6
	.protected	fft_rtc_back_len1470_factors_2_3_5_7_7_wgs_210_tpt_210_halfLds_sp_ip_CI_unitstride_sbrr_R2C_dirReg ; -- Begin function fft_rtc_back_len1470_factors_2_3_5_7_7_wgs_210_tpt_210_halfLds_sp_ip_CI_unitstride_sbrr_R2C_dirReg
	.globl	fft_rtc_back_len1470_factors_2_3_5_7_7_wgs_210_tpt_210_halfLds_sp_ip_CI_unitstride_sbrr_R2C_dirReg
	.p2align	8
	.type	fft_rtc_back_len1470_factors_2_3_5_7_7_wgs_210_tpt_210_halfLds_sp_ip_CI_unitstride_sbrr_R2C_dirReg,@function
fft_rtc_back_len1470_factors_2_3_5_7_7_wgs_210_tpt_210_halfLds_sp_ip_CI_unitstride_sbrr_R2C_dirReg: ; @fft_rtc_back_len1470_factors_2_3_5_7_7_wgs_210_tpt_210_halfLds_sp_ip_CI_unitstride_sbrr_R2C_dirReg
; %bb.0:
	s_load_dwordx2 s[8:9], s[0:1], 0x50
	s_load_dwordx4 s[4:7], s[0:1], 0x0
	s_load_dwordx2 s[10:11], s[0:1], 0x18
	v_mul_u32_u24_e32 v1, 0x139, v0
	v_add_u32_sdwa v6, s2, v1 dst_sel:DWORD dst_unused:UNUSED_PAD src0_sel:DWORD src1_sel:WORD_1
	v_mov_b32_e32 v4, 0
	s_waitcnt lgkmcnt(0)
	v_cmp_lt_u64_e64 s[2:3], s[6:7], 2
	v_mov_b32_e32 v7, v4
	s_and_b64 vcc, exec, s[2:3]
	v_mov_b64_e32 v[2:3], 0
	s_cbranch_vccnz .LBB0_8
; %bb.1:
	s_load_dwordx2 s[2:3], s[0:1], 0x10
	s_add_u32 s12, s10, 8
	s_addc_u32 s13, s11, 0
	s_mov_b64 s[14:15], 1
	v_mov_b64_e32 v[2:3], 0
	s_waitcnt lgkmcnt(0)
	s_add_u32 s16, s2, 8
	s_addc_u32 s17, s3, 0
.LBB0_2:                                ; =>This Inner Loop Header: Depth=1
	s_load_dwordx2 s[18:19], s[16:17], 0x0
                                        ; implicit-def: $vgpr8_vgpr9
	s_waitcnt lgkmcnt(0)
	v_or_b32_e32 v5, s19, v7
	v_cmp_ne_u64_e32 vcc, 0, v[4:5]
	s_and_saveexec_b64 s[2:3], vcc
	s_xor_b64 s[20:21], exec, s[2:3]
	s_cbranch_execz .LBB0_4
; %bb.3:                                ;   in Loop: Header=BB0_2 Depth=1
	v_cvt_f32_u32_e32 v1, s18
	v_cvt_f32_u32_e32 v5, s19
	s_sub_u32 s2, 0, s18
	s_subb_u32 s3, 0, s19
	v_fmac_f32_e32 v1, 0x4f800000, v5
	v_rcp_f32_e32 v1, v1
	s_nop 0
	v_mul_f32_e32 v1, 0x5f7ffffc, v1
	v_mul_f32_e32 v5, 0x2f800000, v1
	v_trunc_f32_e32 v5, v5
	v_fmac_f32_e32 v1, 0xcf800000, v5
	v_cvt_u32_f32_e32 v5, v5
	v_cvt_u32_f32_e32 v1, v1
	v_mul_lo_u32 v8, s2, v5
	v_mul_hi_u32 v10, s2, v1
	v_mul_lo_u32 v9, s3, v1
	v_add_u32_e32 v10, v10, v8
	v_mul_lo_u32 v12, s2, v1
	v_add_u32_e32 v13, v10, v9
	v_mul_hi_u32 v8, v1, v12
	v_mul_hi_u32 v11, v1, v13
	v_mul_lo_u32 v10, v1, v13
	v_mov_b32_e32 v9, v4
	v_lshl_add_u64 v[8:9], v[8:9], 0, v[10:11]
	v_mul_hi_u32 v11, v5, v12
	v_mul_lo_u32 v12, v5, v12
	v_add_co_u32_e32 v8, vcc, v8, v12
	v_mul_hi_u32 v10, v5, v13
	s_nop 0
	v_addc_co_u32_e32 v8, vcc, v9, v11, vcc
	v_mov_b32_e32 v9, v4
	s_nop 0
	v_addc_co_u32_e32 v11, vcc, 0, v10, vcc
	v_mul_lo_u32 v10, v5, v13
	v_lshl_add_u64 v[8:9], v[8:9], 0, v[10:11]
	v_add_co_u32_e32 v1, vcc, v1, v8
	v_mul_lo_u32 v10, s2, v1
	s_nop 0
	v_addc_co_u32_e32 v5, vcc, v5, v9, vcc
	v_mul_lo_u32 v8, s2, v5
	v_mul_hi_u32 v9, s2, v1
	v_add_u32_e32 v8, v9, v8
	v_mul_lo_u32 v9, s3, v1
	v_add_u32_e32 v12, v8, v9
	v_mul_hi_u32 v14, v5, v10
	v_mul_lo_u32 v15, v5, v10
	v_mul_hi_u32 v9, v1, v12
	v_mul_lo_u32 v8, v1, v12
	v_mul_hi_u32 v10, v1, v10
	v_mov_b32_e32 v11, v4
	v_lshl_add_u64 v[8:9], v[10:11], 0, v[8:9]
	v_add_co_u32_e32 v8, vcc, v8, v15
	v_mul_hi_u32 v13, v5, v12
	s_nop 0
	v_addc_co_u32_e32 v8, vcc, v9, v14, vcc
	v_mul_lo_u32 v10, v5, v12
	s_nop 0
	v_addc_co_u32_e32 v11, vcc, 0, v13, vcc
	v_mov_b32_e32 v9, v4
	v_lshl_add_u64 v[8:9], v[8:9], 0, v[10:11]
	v_add_co_u32_e32 v1, vcc, v1, v8
	v_mul_hi_u32 v10, v6, v1
	s_nop 0
	v_addc_co_u32_e32 v5, vcc, v5, v9, vcc
	v_mad_u64_u32 v[8:9], s[2:3], v6, v5, 0
	v_mov_b32_e32 v11, v4
	v_lshl_add_u64 v[8:9], v[10:11], 0, v[8:9]
	v_mad_u64_u32 v[12:13], s[2:3], v7, v1, 0
	v_add_co_u32_e32 v1, vcc, v8, v12
	v_mad_u64_u32 v[10:11], s[2:3], v7, v5, 0
	s_nop 0
	v_addc_co_u32_e32 v8, vcc, v9, v13, vcc
	v_mov_b32_e32 v9, v4
	s_nop 0
	v_addc_co_u32_e32 v11, vcc, 0, v11, vcc
	v_lshl_add_u64 v[8:9], v[8:9], 0, v[10:11]
	v_mul_lo_u32 v1, s19, v8
	v_mul_lo_u32 v5, s18, v9
	v_mad_u64_u32 v[10:11], s[2:3], s18, v8, 0
	v_add3_u32 v1, v11, v5, v1
	v_sub_u32_e32 v5, v7, v1
	v_mov_b32_e32 v11, s19
	v_sub_co_u32_e32 v14, vcc, v6, v10
	v_lshl_add_u64 v[12:13], v[8:9], 0, 1
	s_nop 0
	v_subb_co_u32_e64 v5, s[2:3], v5, v11, vcc
	v_subrev_co_u32_e64 v10, s[2:3], s18, v14
	v_subb_co_u32_e32 v1, vcc, v7, v1, vcc
	s_nop 0
	v_subbrev_co_u32_e64 v5, s[2:3], 0, v5, s[2:3]
	v_cmp_le_u32_e64 s[2:3], s19, v5
	v_cmp_le_u32_e32 vcc, s19, v1
	s_nop 0
	v_cndmask_b32_e64 v11, 0, -1, s[2:3]
	v_cmp_le_u32_e64 s[2:3], s18, v10
	s_nop 1
	v_cndmask_b32_e64 v10, 0, -1, s[2:3]
	v_cmp_eq_u32_e64 s[2:3], s19, v5
	s_nop 1
	v_cndmask_b32_e64 v5, v11, v10, s[2:3]
	v_lshl_add_u64 v[10:11], v[8:9], 0, 2
	v_cmp_ne_u32_e64 s[2:3], 0, v5
	s_nop 1
	v_cndmask_b32_e64 v5, v13, v11, s[2:3]
	v_cndmask_b32_e64 v11, 0, -1, vcc
	v_cmp_le_u32_e32 vcc, s18, v14
	s_nop 1
	v_cndmask_b32_e64 v13, 0, -1, vcc
	v_cmp_eq_u32_e32 vcc, s19, v1
	s_nop 1
	v_cndmask_b32_e32 v1, v11, v13, vcc
	v_cmp_ne_u32_e32 vcc, 0, v1
	v_cndmask_b32_e64 v1, v12, v10, s[2:3]
	s_nop 0
	v_cndmask_b32_e32 v9, v9, v5, vcc
	v_cndmask_b32_e32 v8, v8, v1, vcc
.LBB0_4:                                ;   in Loop: Header=BB0_2 Depth=1
	s_andn2_saveexec_b64 s[2:3], s[20:21]
	s_cbranch_execz .LBB0_6
; %bb.5:                                ;   in Loop: Header=BB0_2 Depth=1
	v_cvt_f32_u32_e32 v1, s18
	s_sub_i32 s20, 0, s18
	v_rcp_iflag_f32_e32 v1, v1
	s_nop 0
	v_mul_f32_e32 v1, 0x4f7ffffe, v1
	v_cvt_u32_f32_e32 v1, v1
	v_mul_lo_u32 v5, s20, v1
	v_mul_hi_u32 v5, v1, v5
	v_add_u32_e32 v1, v1, v5
	v_mul_hi_u32 v1, v6, v1
	v_mul_lo_u32 v5, v1, s18
	v_sub_u32_e32 v5, v6, v5
	v_add_u32_e32 v8, 1, v1
	v_subrev_u32_e32 v9, s18, v5
	v_cmp_le_u32_e32 vcc, s18, v5
	s_nop 1
	v_cndmask_b32_e32 v5, v5, v9, vcc
	v_cndmask_b32_e32 v1, v1, v8, vcc
	v_add_u32_e32 v8, 1, v1
	v_cmp_le_u32_e32 vcc, s18, v5
	v_mov_b32_e32 v9, v4
	s_nop 0
	v_cndmask_b32_e32 v8, v1, v8, vcc
.LBB0_6:                                ;   in Loop: Header=BB0_2 Depth=1
	s_or_b64 exec, exec, s[2:3]
	v_mad_u64_u32 v[10:11], s[2:3], v8, s18, 0
	s_load_dwordx2 s[2:3], s[12:13], 0x0
	v_mul_lo_u32 v1, v9, s18
	v_mul_lo_u32 v5, v8, s19
	v_add3_u32 v1, v11, v5, v1
	v_sub_co_u32_e32 v5, vcc, v6, v10
	s_add_u32 s14, s14, 1
	s_nop 0
	v_subb_co_u32_e32 v1, vcc, v7, v1, vcc
	s_addc_u32 s15, s15, 0
	s_waitcnt lgkmcnt(0)
	v_mul_lo_u32 v1, s2, v1
	v_mul_lo_u32 v6, s3, v5
	v_mad_u64_u32 v[2:3], s[2:3], s2, v5, v[2:3]
	s_add_u32 s12, s12, 8
	v_add3_u32 v3, v6, v3, v1
	s_addc_u32 s13, s13, 0
	v_mov_b64_e32 v[6:7], s[6:7]
	s_add_u32 s16, s16, 8
	v_cmp_ge_u64_e32 vcc, s[14:15], v[6:7]
	s_addc_u32 s17, s17, 0
	s_cbranch_vccnz .LBB0_9
; %bb.7:                                ;   in Loop: Header=BB0_2 Depth=1
	v_mov_b64_e32 v[6:7], v[8:9]
	s_branch .LBB0_2
.LBB0_8:
	v_mov_b64_e32 v[8:9], v[6:7]
.LBB0_9:
	s_lshl_b64 s[2:3], s[6:7], 3
	s_add_u32 s2, s10, s2
	s_addc_u32 s3, s11, s3
	s_load_dwordx2 s[6:7], s[2:3], 0x0
	s_load_dwordx2 s[10:11], s[0:1], 0x20
	s_mov_b32 s2, 0x1381382
                                        ; implicit-def: $vgpr12
                                        ; implicit-def: $vgpr16
                                        ; implicit-def: $vgpr14
	s_waitcnt lgkmcnt(0)
	v_mul_lo_u32 v1, s6, v9
	v_mul_lo_u32 v4, s7, v8
	v_mad_u64_u32 v[2:3], s[0:1], s6, v8, v[2:3]
	v_add3_u32 v3, v4, v3, v1
	v_mul_hi_u32 v1, v0, s2
	v_mul_u32_u24_e32 v1, 0xd2, v1
	v_cmp_gt_u64_e64 s[0:1], s[10:11], v[8:9]
	v_cmp_le_u64_e32 vcc, s[10:11], v[8:9]
	v_sub_u32_e32 v8, v0, v1
	s_and_saveexec_b64 s[2:3], vcc
	s_xor_b64 s[2:3], exec, s[2:3]
; %bb.10:
	v_add_u32_e32 v12, 0xd2, v8
	v_add_u32_e32 v16, 0x1a4, v8
	;; [unrolled: 1-line block ×3, first 2 shown]
; %bb.11:
	s_or_saveexec_b64 s[2:3], s[2:3]
	v_lshl_add_u64 v[10:11], v[2:3], 3, s[8:9]
	s_xor_b64 exec, exec, s[2:3]
	s_cbranch_execz .LBB0_13
; %bb.12:
	v_mov_b32_e32 v9, 0
	v_lshl_add_u64 v[0:1], v[8:9], 3, v[10:11]
	s_movk_i32 s6, 0x1000
	v_add_co_u32_e32 v2, vcc, s6, v0
	v_add_u32_e32 v12, 0xd2, v8
	s_nop 0
	v_addc_co_u32_e32 v3, vcc, 0, v1, vcc
	global_load_dwordx2 v[4:5], v[0:1], off
	global_load_dwordx2 v[6:7], v[0:1], off offset:1680
	global_load_dwordx2 v[18:19], v[0:1], off offset:3360
	;; [unrolled: 1-line block ×3, first 2 shown]
	v_add_co_u32_e32 v0, vcc, 0x2000, v0
	v_add_u32_e32 v16, 0x1a4, v8
	s_nop 0
	v_addc_co_u32_e32 v1, vcc, 0, v1, vcc
	global_load_dwordx2 v[22:23], v[2:3], off offset:2624
	global_load_dwordx2 v[24:25], v[0:1], off offset:208
	;; [unrolled: 1-line block ×3, first 2 shown]
	v_lshl_add_u32 v0, v8, 3, 0
	v_add_u32_e32 v14, 0x276, v8
	v_add_u32_e32 v1, 0xc00, v0
	;; [unrolled: 1-line block ×3, first 2 shown]
	s_waitcnt vmcnt(5)
	ds_write2_b64 v0, v[4:5], v[6:7] offset1:210
	s_waitcnt vmcnt(3)
	ds_write2_b64 v1, v[18:19], v[20:21] offset0:36 offset1:246
	s_waitcnt vmcnt(1)
	ds_write2_b64 v2, v[22:23], v[24:25] offset0:8 offset1:218
	s_waitcnt vmcnt(0)
	ds_write_b64 v0, v[26:27] offset:10080
.LBB0_13:
	s_or_b64 exec, exec, s[2:3]
	v_lshlrev_b32_e32 v9, 3, v8
	v_add_u32_e32 v30, 0, v9
	v_add_u32_e32 v0, 0xc00, v30
	;; [unrolled: 1-line block ×3, first 2 shown]
	s_waitcnt lgkmcnt(0)
	s_barrier
	ds_read2_b64 v[0:3], v0 offset0:36 offset1:246
	ds_read2_b64 v[4:7], v4 offset0:3 offset1:213
	ds_read2_b64 v[22:25], v30 offset1:210
	s_movk_i32 s2, 0x69
	v_add_u32_e32 v17, v30, v9
	v_lshl_add_u32 v13, v12, 4, 0
	s_waitcnt lgkmcnt(1)
	v_pk_add_f32 v[20:21], v[2:3], v[6:7] neg_lo:[0,1] neg_hi:[0,1]
	v_lshl_add_u32 v15, v16, 4, 0
	v_pk_fma_f32 v[18:19], v[2:3], 2.0, v[20:21] op_sel_hi:[1,0,1] neg_lo:[0,0,1] neg_hi:[0,0,1]
	v_add_u32_e32 v2, 0x1600, v30
	ds_read2_b64 v[26:29], v2 offset0:31 offset1:241
	v_pk_add_f32 v[2:3], v[0:1], v[4:5] neg_lo:[0,1] neg_hi:[0,1]
	v_cmp_gt_u32_e32 vcc, s2, v8
	v_pk_fma_f32 v[0:1], v[0:1], 2.0, v[2:3] op_sel_hi:[1,0,1] neg_lo:[0,0,1] neg_hi:[0,0,1]
	s_waitcnt lgkmcnt(0)
	v_pk_add_f32 v[4:5], v[24:25], v[28:29] neg_lo:[0,1] neg_hi:[0,1]
	s_barrier
	v_pk_fma_f32 v[6:7], v[24:25], 2.0, v[4:5] op_sel_hi:[1,0,1] neg_lo:[0,0,1] neg_hi:[0,0,1]
	v_pk_add_f32 v[24:25], v[22:23], v[26:27] neg_lo:[0,1] neg_hi:[0,1]
	s_nop 0
	v_pk_fma_f32 v[22:23], v[22:23], 2.0, v[24:25] op_sel_hi:[1,0,1] neg_lo:[0,0,1] neg_hi:[0,0,1]
	ds_write2_b64 v17, v[22:23], v[24:25] offset1:1
	ds_write2_b64 v13, v[6:7], v[4:5] offset1:1
	ds_write2_b64 v15, v[0:1], v[2:3] offset1:1
	s_and_saveexec_b64 s[2:3], vcc
	s_cbranch_execz .LBB0_15
; %bb.14:
	v_lshl_add_u32 v0, v14, 4, 0
	ds_write2_b64 v0, v[18:19], v[20:21] offset1:1
.LBB0_15:
	s_or_b64 exec, exec, s[2:3]
	v_add_u32_e32 v0, 0xe00, v30
	v_add_u32_e32 v4, 0x1e00, v30
	v_lshlrev_b32_e32 v29, 3, v12
	s_waitcnt lgkmcnt(0)
	s_barrier
	ds_read2_b64 v[0:3], v0 offset0:42 offset1:252
	ds_read2_b64 v[4:7], v4 offset0:20 offset1:230
	v_sub_u32_e32 v17, v13, v29
	ds_read_b64 v[22:23], v30
	ds_read_b64 v[24:25], v17
	s_waitcnt lgkmcnt(0)
	ds_read_b32 v25, v17 offset:4
	s_movk_i32 s2, 0x46
	v_cmp_gt_u32_e64 s[2:3], s2, v8
                                        ; implicit-def: $vgpr28
                                        ; implicit-def: $vgpr26
	s_and_saveexec_b64 s[6:7], s[2:3]
	s_cbranch_execz .LBB0_17
; %bb.16:
	v_lshlrev_b32_e32 v17, 3, v16
	v_sub_u32_e32 v15, v15, v17
	ds_read_b64 v[18:19], v15
	ds_read_b64 v[26:27], v30 offset:11200
	ds_read_b64 v[20:21], v30 offset:7280
	s_waitcnt lgkmcnt(1)
	v_mov_b32_e32 v28, v27
.LBB0_17:
	s_or_b64 exec, exec, s[6:7]
	v_and_b32_e32 v17, 1, v8
	v_lshlrev_b32_e32 v15, 4, v17
	global_load_dwordx4 v[32:35], v15, s[4:5]
	v_sub_u32_e32 v15, 0, v29
	v_lshrrev_b32_e32 v29, 1, v12
	v_lshrrev_b32_e32 v27, 1, v8
	v_mul_lo_u32 v29, v29, 6
	s_waitcnt lgkmcnt(0)
	v_mov_b32_e32 v40, v21
	v_mul_u32_u24_e32 v27, 6, v27
	v_or_b32_e32 v29, v29, v17
	v_mov_b32_e32 v36, v3
	v_mov_b32_e32 v38, v7
	v_or_b32_e32 v27, v27, v17
	v_lshl_add_u32 v54, v29, 3, 0
	v_lshl_add_u32 v31, v27, 3, 0
	s_mov_b32 s6, 0x3f5db3d7
	s_barrier
	s_waitcnt vmcnt(0)
	v_pk_mul_f32 v[40:41], v[40:41], v[32:33] op_sel_hi:[0,1]
	v_pk_mul_f32 v[28:29], v[28:29], v[34:35] op_sel_hi:[0,1]
	;; [unrolled: 1-line block ×3, first 2 shown]
	v_mov_b32_e32 v44, v35
	v_mov_b32_e32 v45, v34
	v_pk_mul_f32 v[46:47], v[34:35], v[6:7] op_sel_hi:[1,0]
	v_pk_mul_f32 v[48:49], v[32:33], v[0:1] op_sel:[0,1]
	v_pk_mul_f32 v[50:51], v[34:35], v[4:5] op_sel:[0,1]
	v_pk_fma_f32 v[52:53], v[20:21], v[32:33], v[40:41] op_sel:[0,0,1] op_sel_hi:[1,1,0]
	v_pk_fma_f32 v[20:21], v[20:21], v[32:33], v[40:41] op_sel:[0,0,1] op_sel_hi:[0,1,0] neg_lo:[1,0,0] neg_hi:[1,0,0]
	v_pk_fma_f32 v[40:41], v[26:27], v[34:35], v[28:29] op_sel:[0,0,1] op_sel_hi:[1,1,0]
	v_pk_fma_f32 v[26:27], v[26:27], v[34:35], v[28:29] op_sel:[0,0,1] op_sel_hi:[0,1,0] neg_lo:[1,0,0] neg_hi:[1,0,0]
	;; [unrolled: 2-line block ×3, first 2 shown]
	v_pk_fma_f32 v[36:37], v[44:45], v[38:39], v[46:47]
	v_pk_fma_f32 v[6:7], v[44:45], v[6:7], v[46:47] op_sel:[0,1,0] neg_lo:[0,0,1] neg_hi:[0,0,1]
	v_pk_fma_f32 v[38:39], v[32:33], v[0:1], v[48:49] op_sel:[0,0,1] op_sel_hi:[1,1,0]
	v_pk_fma_f32 v[0:1], v[32:33], v[0:1], v[48:49] op_sel:[0,0,1] op_sel_hi:[1,0,0] neg_lo:[1,0,0] neg_hi:[1,0,0]
	v_pk_fma_f32 v[32:33], v[34:35], v[4:5], v[50:51] op_sel:[0,0,1] op_sel_hi:[1,1,0]
	v_pk_fma_f32 v[4:5], v[34:35], v[4:5], v[50:51] op_sel:[0,0,1] op_sel_hi:[1,0,0] neg_lo:[1,0,0] neg_hi:[1,0,0]
	v_mov_b32_e32 v53, v21
	v_mov_b32_e32 v41, v27
	;; [unrolled: 1-line block ×6, first 2 shown]
	v_pk_add_f32 v[0:1], v[28:29], v[36:37]
	v_pk_add_f32 v[2:3], v[28:29], v[36:37] neg_lo:[0,1] neg_hi:[0,1]
	v_pk_add_f32 v[6:7], v[52:53], v[40:41]
	v_pk_add_f32 v[20:21], v[52:53], v[40:41] neg_lo:[0,1] neg_hi:[0,1]
	v_pk_add_f32 v[26:27], v[38:39], v[22:23]
	v_pk_add_f32 v[34:35], v[38:39], v[32:33]
	v_pk_add_f32 v[38:39], v[38:39], v[32:33] neg_lo:[0,1] neg_hi:[0,1]
	v_pk_add_f32 v[4:5], v[18:19], v[52:53]
	v_pk_add_f32 v[28:29], v[28:29], v[24:25]
	v_pk_fma_f32 v[0:1], v[0:1], 0.5, v[24:25] op_sel_hi:[1,0,1] neg_lo:[1,0,0] neg_hi:[1,0,0]
	v_pk_mul_f32 v[24:25], v[2:3], s[6:7] op_sel_hi:[1,0]
	v_pk_fma_f32 v[6:7], v[6:7], 0.5, v[18:19] op_sel_hi:[1,0,1] neg_lo:[1,0,0] neg_hi:[1,0,0]
	v_pk_mul_f32 v[18:19], v[20:21], s[6:7] op_sel_hi:[1,0]
	v_pk_add_f32 v[20:21], v[26:27], v[32:33]
	v_pk_fma_f32 v[22:23], v[34:35], 0.5, v[22:23] op_sel_hi:[1,0,1] neg_lo:[1,0,0] neg_hi:[1,0,0]
	v_pk_mul_f32 v[26:27], v[38:39], s[6:7] op_sel_hi:[1,0]
	v_pk_add_f32 v[2:3], v[4:5], v[40:41]
	v_pk_add_f32 v[32:33], v[0:1], v[24:25] op_sel:[0,1] op_sel_hi:[1,0]
	v_pk_add_f32 v[24:25], v[0:1], v[24:25] op_sel:[0,1] op_sel_hi:[1,0] neg_lo:[0,1] neg_hi:[0,1]
	v_pk_add_f32 v[4:5], v[6:7], v[18:19] op_sel:[0,1] op_sel_hi:[1,0] neg_lo:[0,1] neg_hi:[0,1]
	v_pk_add_f32 v[6:7], v[6:7], v[18:19] op_sel:[0,1] op_sel_hi:[1,0]
	v_pk_add_f32 v[18:19], v[22:23], v[26:27] op_sel:[0,1] op_sel_hi:[1,0] neg_lo:[0,1] neg_hi:[0,1]
	v_pk_add_f32 v[22:23], v[22:23], v[26:27] op_sel:[0,1] op_sel_hi:[1,0]
	v_mov_b32_e32 v0, v32
	v_mov_b32_e32 v1, v25
	;; [unrolled: 1-line block ×4, first 2 shown]
	v_pk_add_f32 v[28:29], v[28:29], v[36:37]
	v_mov_b32_e32 v23, v19
	v_mov_b32_e32 v25, v33
	ds_write2_b64 v31, v[20:21], v[26:27] offset1:2
	ds_write_b64 v31, v[22:23] offset:32
	ds_write2_b64 v54, v[28:29], v[24:25] offset1:2
	ds_write_b64 v54, v[0:1] offset:32
	s_and_saveexec_b64 s[6:7], s[2:3]
	s_cbranch_execz .LBB0_19
; %bb.18:
	v_lshrrev_b32_e32 v18, 1, v16
	v_mul_lo_u32 v18, v18, 6
	v_or_b32_e32 v17, v18, v17
	v_lshl_add_u32 v17, v17, 3, 0
	v_mov_b32_e32 v18, v4
	v_mov_b32_e32 v19, v7
	ds_write2_b64 v17, v[2:3], v[18:19] offset1:2
	v_mov_b32_e32 v18, v6
	v_mov_b32_e32 v19, v5
	ds_write_b64 v17, v[18:19] offset:32
.LBB0_19:
	s_or_b64 exec, exec, s[6:7]
	s_waitcnt lgkmcnt(0)
	s_barrier
	ds_read_b64 v[20:21], v30
	ds_read_b64 v[28:29], v30 offset:2352
	ds_read_b64 v[26:27], v30 offset:4704
	;; [unrolled: 1-line block ×4, first 2 shown]
	s_movk_i32 s2, 0x54
	v_cmp_gt_u32_e64 s[2:3], s2, v8
	v_add_u32_e32 v15, v13, v15
                                        ; implicit-def: $vgpr18
	s_and_saveexec_b64 s[6:7], s[2:3]
	s_cbranch_execz .LBB0_21
; %bb.20:
	ds_read_b64 v[4:5], v30 offset:8736
	ds_read_b64 v[2:3], v30 offset:4032
	;; [unrolled: 1-line block ×3, first 2 shown]
	ds_read_b64 v[0:1], v15
	ds_read_b64 v[18:19], v30 offset:11088
	s_waitcnt lgkmcnt(4)
	v_mov_b32_e32 v6, v4
	s_waitcnt lgkmcnt(2)
	v_mov_b32_e32 v7, v33
	v_mov_b32_e32 v4, v32
.LBB0_21:
	s_or_b64 exec, exec, s[6:7]
	s_movk_i32 s6, 0xab
	v_mul_lo_u16_sdwa v13, v8, s6 dst_sel:DWORD dst_unused:UNUSED_PAD src0_sel:BYTE_0 src1_sel:DWORD
	v_lshrrev_b16_e32 v17, 10, v13
	v_mul_lo_u16_e32 v13, 6, v17
	v_sub_u16_e32 v31, v8, v13
	v_mov_b32_e32 v13, 5
	v_lshlrev_b32_sdwa v13, v13, v31 dst_sel:DWORD dst_unused:UNUSED_PAD src0_sel:DWORD src1_sel:BYTE_0
	global_load_dwordx4 v[32:35], v13, s[4:5] offset:32
	global_load_dwordx4 v[36:39], v13, s[4:5] offset:48
	s_mov_b32 s8, 0x3f737871
	s_mov_b32 s10, 0x3f167918
	v_mov_b32_e32 v13, 3
	s_mov_b32 s6, 0x3e9e377a
	v_mul_u32_u24_e32 v17, 0xf0, v17
	v_lshlrev_b32_sdwa v31, v13, v31 dst_sel:DWORD dst_unused:UNUSED_PAD src0_sel:DWORD src1_sel:BYTE_0
	v_add3_u32 v17, 0, v17, v31
	s_waitcnt lgkmcnt(0)
	s_barrier
	s_waitcnt vmcnt(1)
	v_pk_mul_f32 v[40:41], v[32:33], v[28:29] op_sel:[0,1]
	v_pk_mul_f32 v[42:43], v[34:35], v[26:27] op_sel:[0,1]
	s_waitcnt vmcnt(0)
	v_pk_mul_f32 v[44:45], v[36:37], v[24:25] op_sel:[0,1]
	v_pk_mul_f32 v[46:47], v[38:39], v[22:23] op_sel:[0,1]
	v_pk_fma_f32 v[48:49], v[32:33], v[28:29], v[40:41] op_sel:[0,0,1] op_sel_hi:[1,1,0]
	v_pk_fma_f32 v[28:29], v[32:33], v[28:29], v[40:41] op_sel:[0,0,1] op_sel_hi:[1,0,0] neg_lo:[1,0,0] neg_hi:[1,0,0]
	v_pk_fma_f32 v[32:33], v[34:35], v[26:27], v[42:43] op_sel:[0,0,1] op_sel_hi:[1,1,0]
	v_pk_fma_f32 v[26:27], v[34:35], v[26:27], v[42:43] op_sel:[0,0,1] op_sel_hi:[1,0,0] neg_lo:[1,0,0] neg_hi:[1,0,0]
	;; [unrolled: 2-line block ×4, first 2 shown]
	v_mov_b32_e32 v49, v29
	v_mov_b32_e32 v33, v27
	;; [unrolled: 1-line block ×4, first 2 shown]
	v_pk_add_f32 v[22:23], v[20:21], v[48:49]
	v_pk_add_f32 v[24:25], v[32:33], v[34:35]
	v_pk_add_f32 v[26:27], v[48:49], v[36:37] neg_lo:[0,1] neg_hi:[0,1]
	v_pk_add_f32 v[28:29], v[32:33], v[34:35] neg_lo:[0,1] neg_hi:[0,1]
	;; [unrolled: 1-line block ×3, first 2 shown]
	v_pk_add_f32 v[42:43], v[48:49], v[36:37]
	v_pk_add_f32 v[44:45], v[32:33], v[48:49] neg_lo:[0,1] neg_hi:[0,1]
	v_pk_add_f32 v[22:23], v[22:23], v[32:33]
	v_pk_fma_f32 v[24:25], v[24:25], 0.5, v[20:21] op_sel_hi:[1,0,1] neg_lo:[1,0,0] neg_hi:[1,0,0]
	v_pk_mul_f32 v[32:33], v[26:27], s[8:9] op_sel_hi:[1,0]
	v_pk_add_f32 v[40:41], v[36:37], v[34:35] neg_lo:[0,1] neg_hi:[0,1]
	v_pk_add_f32 v[46:47], v[34:35], v[36:37] neg_lo:[0,1] neg_hi:[0,1]
	v_pk_mul_f32 v[48:49], v[28:29], s[10:11] op_sel_hi:[1,0]
	v_pk_fma_f32 v[20:21], v[42:43], 0.5, v[20:21] op_sel_hi:[1,0,1] neg_lo:[1,0,0] neg_hi:[1,0,0]
	v_pk_mul_f32 v[28:29], v[28:29], s[8:9] op_sel_hi:[1,0]
	v_pk_add_f32 v[22:23], v[22:23], v[34:35]
	v_pk_add_f32 v[34:35], v[24:25], v[32:33] op_sel:[0,1] op_sel_hi:[1,0] neg_lo:[0,1] neg_hi:[0,1]
	v_pk_add_f32 v[24:25], v[24:25], v[32:33] op_sel:[0,1] op_sel_hi:[1,0]
	v_pk_mul_f32 v[26:27], v[26:27], s[10:11] op_sel_hi:[1,0]
	v_pk_add_f32 v[32:33], v[20:21], v[28:29] op_sel:[0,1] op_sel_hi:[1,0]
	v_pk_add_f32 v[20:21], v[20:21], v[28:29] op_sel:[0,1] op_sel_hi:[1,0] neg_lo:[0,1] neg_hi:[0,1]
	v_pk_add_f32 v[24:25], v[24:25], v[48:49] op_sel:[0,1] op_sel_hi:[1,0]
	v_pk_add_f32 v[28:29], v[34:35], v[48:49] op_sel:[0,1] op_sel_hi:[1,0] neg_lo:[0,1] neg_hi:[0,1]
	v_pk_add_f32 v[38:39], v[38:39], v[40:41]
	v_pk_add_f32 v[20:21], v[20:21], v[26:27] op_sel:[0,1] op_sel_hi:[1,0]
	v_pk_add_f32 v[26:27], v[32:33], v[26:27] op_sel:[0,1] op_sel_hi:[1,0] neg_lo:[0,1] neg_hi:[0,1]
	v_mov_b32_e32 v32, v28
	v_mov_b32_e32 v33, v25
	v_pk_add_f32 v[40:41], v[44:45], v[46:47]
	v_pk_add_f32 v[22:23], v[22:23], v[36:37]
	v_mov_b32_e32 v34, v26
	v_mov_b32_e32 v35, v21
	;; [unrolled: 1-line block ×4, first 2 shown]
	v_pk_fma_f32 v[26:27], v[38:39], s[6:7], v[32:33] op_sel_hi:[1,0,1]
	v_pk_fma_f32 v[28:29], v[40:41], s[6:7], v[34:35] op_sel_hi:[1,0,1]
	;; [unrolled: 1-line block ×4, first 2 shown]
	ds_write2_b64 v17, v[22:23], v[26:27] offset1:6
	ds_write2_b64 v17, v[28:29], v[20:21] offset0:12 offset1:18
	ds_write_b64 v17, v[24:25] offset:192
	s_and_saveexec_b64 s[12:13], s[2:3]
	s_cbranch_execz .LBB0_23
; %bb.22:
	s_mov_b32 s2, 0xaaab
	v_mul_u32_u24_sdwa v17, v12, s2 dst_sel:DWORD dst_unused:UNUSED_PAD src0_sel:WORD_0 src1_sel:DWORD
	v_lshrrev_b32_e32 v17, 18, v17
	v_mul_lo_u16_e32 v20, 6, v17
	v_sub_u16_e32 v29, v12, v20
	v_lshlrev_b32_e32 v28, 5, v29
	global_load_dwordx4 v[20:23], v28, s[4:5] offset:32
	global_load_dwordx4 v[24:27], v28, s[4:5] offset:48
	v_mov_b32_e32 v28, v3
	v_mov_b32_e32 v32, v7
	;; [unrolled: 1-line block ×4, first 2 shown]
	v_mul_lo_u16_e32 v3, 30, v17
	v_lshlrev_b32_e32 v3, 3, v3
	v_lshlrev_b32_e32 v5, 3, v29
	v_add3_u32 v17, 0, v5, v3
	s_waitcnt vmcnt(1)
	v_pk_mul_f32 v[28:29], v[28:29], v[20:21] op_sel_hi:[0,1]
	v_pk_mul_f32 v[32:33], v[32:33], v[22:23] op_sel_hi:[0,1]
	s_waitcnt vmcnt(0)
	v_pk_mul_f32 v[34:35], v[34:35], v[26:27] op_sel_hi:[0,1]
	v_pk_mul_f32 v[36:37], v[36:37], v[24:25] op_sel_hi:[0,1]
	v_pk_fma_f32 v[38:39], v[4:5], v[22:23], v[32:33] op_sel:[0,0,1] op_sel_hi:[1,1,0]
	v_pk_fma_f32 v[4:5], v[4:5], v[22:23], v[32:33] op_sel:[0,0,1] op_sel_hi:[0,1,0] neg_lo:[1,0,0] neg_hi:[1,0,0]
	v_pk_fma_f32 v[22:23], v[2:3], v[20:21], v[28:29] op_sel:[0,0,1] op_sel_hi:[1,1,0]
	v_pk_fma_f32 v[2:3], v[2:3], v[20:21], v[28:29] op_sel:[0,0,1] op_sel_hi:[0,1,0] neg_lo:[1,0,0] neg_hi:[1,0,0]
	;; [unrolled: 2-line block ×4, first 2 shown]
	v_mov_b32_e32 v39, v5
	v_mov_b32_e32 v23, v3
	;; [unrolled: 1-line block ×4, first 2 shown]
	v_pk_add_f32 v[2:3], v[0:1], v[22:23]
	v_pk_add_f32 v[4:5], v[22:23], v[38:39] neg_lo:[0,1] neg_hi:[0,1]
	v_pk_add_f32 v[6:7], v[24:25], v[20:21] neg_lo:[0,1] neg_hi:[0,1]
	v_pk_add_f32 v[18:19], v[38:39], v[20:21]
	v_pk_add_f32 v[26:27], v[22:23], v[24:25] neg_lo:[0,1] neg_hi:[0,1]
	v_pk_add_f32 v[28:29], v[38:39], v[20:21] neg_lo:[0,1] neg_hi:[0,1]
	v_pk_add_f32 v[32:33], v[38:39], v[22:23] neg_lo:[0,1] neg_hi:[0,1]
	v_pk_add_f32 v[22:23], v[22:23], v[24:25]
	v_pk_add_f32 v[2:3], v[2:3], v[38:39]
	;; [unrolled: 1-line block ×3, first 2 shown]
	v_pk_fma_f32 v[6:7], v[18:19], 0.5, v[0:1] op_sel_hi:[1,0,1] neg_lo:[1,0,0] neg_hi:[1,0,0]
	v_pk_mul_f32 v[18:19], v[26:27], s[8:9] op_sel_hi:[1,0]
	v_pk_add_f32 v[34:35], v[20:21], v[24:25] neg_lo:[0,1] neg_hi:[0,1]
	v_pk_mul_f32 v[36:37], v[28:29], s[10:11] op_sel_hi:[1,0]
	v_pk_fma_f32 v[0:1], v[22:23], 0.5, v[0:1] op_sel_hi:[1,0,1] neg_lo:[1,0,0] neg_hi:[1,0,0]
	v_pk_mul_f32 v[22:23], v[28:29], s[8:9] op_sel_hi:[1,0]
	v_pk_add_f32 v[2:3], v[2:3], v[20:21]
	v_pk_add_f32 v[20:21], v[6:7], v[18:19] op_sel:[0,1] op_sel_hi:[1,0] neg_lo:[0,1] neg_hi:[0,1]
	v_pk_add_f32 v[6:7], v[6:7], v[18:19] op_sel:[0,1] op_sel_hi:[1,0]
	v_pk_mul_f32 v[26:27], v[26:27], s[10:11] op_sel_hi:[1,0]
	v_pk_add_f32 v[18:19], v[0:1], v[22:23] op_sel:[0,1] op_sel_hi:[1,0]
	v_pk_add_f32 v[0:1], v[0:1], v[22:23] op_sel:[0,1] op_sel_hi:[1,0] neg_lo:[0,1] neg_hi:[0,1]
	v_pk_add_f32 v[6:7], v[6:7], v[36:37] op_sel:[0,1] op_sel_hi:[1,0]
	v_pk_add_f32 v[20:21], v[20:21], v[36:37] op_sel:[0,1] op_sel_hi:[1,0] neg_lo:[0,1] neg_hi:[0,1]
	;; [unrolled: 2-line block ×3, first 2 shown]
	v_mov_b32_e32 v22, v20
	v_mov_b32_e32 v23, v7
	v_pk_add_f32 v[32:33], v[32:33], v[34:35]
	v_pk_add_f32 v[2:3], v[2:3], v[24:25]
	v_mov_b32_e32 v24, v18
	v_mov_b32_e32 v25, v1
	;; [unrolled: 1-line block ×4, first 2 shown]
	v_pk_fma_f32 v[18:19], v[4:5], s[6:7], v[22:23] op_sel_hi:[1,0,1]
	v_pk_fma_f32 v[20:21], v[32:33], s[6:7], v[24:25] op_sel_hi:[1,0,1]
	v_pk_fma_f32 v[0:1], v[32:33], s[6:7], v[0:1] op_sel_hi:[1,0,1]
	v_pk_fma_f32 v[4:5], v[4:5], s[6:7], v[6:7] op_sel_hi:[1,0,1]
	ds_write2_b64 v17, v[2:3], v[18:19] offset1:6
	ds_write2_b64 v17, v[20:21], v[0:1] offset0:12 offset1:18
	ds_write_b64 v17, v[4:5] offset:192
.LBB0_23:
	s_or_b64 exec, exec, s[12:13]
	s_movk_i32 s2, 0x89
	v_mul_lo_u16_sdwa v0, v8, s2 dst_sel:DWORD dst_unused:UNUSED_PAD src0_sel:BYTE_0 src1_sel:DWORD
	v_lshrrev_b16_e32 v17, 12, v0
	v_mul_lo_u16_e32 v0, 30, v17
	v_sub_u16_e32 v31, v8, v0
	v_mov_b32_e32 v0, 6
	v_mul_u32_u24_sdwa v0, v31, v0 dst_sel:DWORD dst_unused:UNUSED_PAD src0_sel:BYTE_0 src1_sel:DWORD
	v_lshlrev_b32_e32 v4, 3, v0
	s_waitcnt lgkmcnt(0)
	s_barrier
	global_load_dwordx4 v[0:3], v4, s[4:5] offset:240
	global_load_dwordx4 v[18:21], v4, s[4:5] offset:224
	;; [unrolled: 1-line block ×3, first 2 shown]
	ds_read_b64 v[4:5], v30
	ds_read_b64 v[32:33], v15
	v_lshl_add_u32 v6, v14, 3, 0
	v_lshl_add_u32 v7, v16, 3, 0
	v_add_u32_e32 v58, 0x1a00, v30
	ds_read_b64 v[34:35], v6
	ds_read2_b64 v[26:29], v58 offset0:8 offset1:218
	ds_read_b64 v[36:37], v7
	ds_read_b64 v[38:39], v30 offset:10080
	s_waitcnt lgkmcnt(4)
	v_mov_b32_e32 v40, v33
	s_mov_b32 s8, 0x3f08b237
	s_waitcnt lgkmcnt(2)
	v_mov_b32_e32 v44, v29
	s_waitcnt lgkmcnt(1)
	v_mov_b32_e32 v42, v37
	;; [unrolled: 2-line block ×3, first 2 shown]
	s_mov_b32 s16, 0x3d64c772
	s_mov_b32 s9, 0xbeae86e6
	;; [unrolled: 1-line block ×9, first 2 shown]
	v_mul_u32_u24_e32 v17, 0x690, v17
	v_lshlrev_b32_sdwa v13, v13, v31 dst_sel:DWORD dst_unused:UNUSED_PAD src0_sel:DWORD src1_sel:BYTE_0
	v_add3_u32 v13, 0, v17, v13
	s_barrier
	s_mov_b32 s10, 0xbf5ff5aa
	s_mov_b32 s12, 0x3f3bfb3b
	s_waitcnt vmcnt(2)
	v_mul_f32_e32 v52, v3, v27
	v_mul_f32_e32 v3, v3, v26
	s_waitcnt vmcnt(1)
	v_pk_mul_f32 v[54:55], v[18:19], v[32:33] op_sel_hi:[1,0]
	v_mul_f32_e32 v48, v0, v34
	v_mul_f32_e32 v50, v1, v35
	;; [unrolled: 1-line block ×4, first 2 shown]
	v_pk_mul_f32 v[56:57], v[20:21], v[36:37] op_sel_hi:[1,0]
	v_fma_f32 v2, v2, v27, -v3
	s_waitcnt vmcnt(0)
	v_pk_mul_f32 v[26:27], v[22:23], v[28:29] op_sel_hi:[1,0]
	v_pk_fma_f32 v[40:41], v[18:19], v[40:41], v[54:55] op_sel:[0,0,1] op_sel_hi:[1,1,0] neg_lo:[0,0,1] neg_hi:[0,0,1]
	v_pk_fma_f32 v[18:19], v[18:19], v[32:33], v[54:55] op_sel:[0,1,1] op_sel_hi:[1,1,0]
	v_pk_mul_f32 v[32:33], v[24:25], v[38:39] op_sel_hi:[1,0]
	v_pk_fma_f32 v[42:43], v[20:21], v[42:43], v[56:57] op_sel:[0,0,1] op_sel_hi:[1,1,0] neg_lo:[0,0,1] neg_hi:[0,0,1]
	v_pk_fma_f32 v[20:21], v[20:21], v[36:37], v[56:57] op_sel:[0,1,1] op_sel_hi:[1,1,0]
	v_pk_fma_f32 v[36:37], v[22:23], v[44:45], v[26:27] op_sel:[0,0,1] op_sel_hi:[1,1,0] neg_lo:[0,0,1] neg_hi:[0,0,1]
	v_pk_fma_f32 v[22:23], v[22:23], v[28:29], v[26:27] op_sel:[0,1,1] op_sel_hi:[1,1,0]
	v_pk_fma_f32 v[26:27], v[24:25], v[46:47], v[32:33] op_sel:[0,0,1] op_sel_hi:[1,1,0] neg_lo:[0,0,1] neg_hi:[0,0,1]
	v_fma_f32 v0, v0, v35, -v1
	v_pk_fma_f32 v[24:25], v[24:25], v[38:39], v[32:33] op_sel:[0,1,1] op_sel_hi:[1,1,0]
	v_mov_b32_e32 v35, v40
	v_mov_b32_e32 v53, v26
	;; [unrolled: 1-line block ×8, first 2 shown]
	v_pk_add_f32 v[32:33], v[34:35], v[52:53]
	v_pk_add_f32 v[34:35], v[48:49], v[50:51]
	;; [unrolled: 1-line block ×3, first 2 shown]
	v_pk_add_f32 v[24:25], v[40:41], v[26:27] neg_lo:[0,1] neg_hi:[0,1]
	v_pk_add_f32 v[26:27], v[42:43], v[36:37]
	v_mov_b32_e32 v3, v32
	v_mov_b32_e32 v1, v34
	;; [unrolled: 1-line block ×4, first 2 shown]
	v_pk_add_f32 v[28:29], v[42:43], v[36:37] neg_lo:[0,1] neg_hi:[0,1]
	v_mov_b32_e32 v18, v27
	v_mov_b32_e32 v20, v23
	v_pk_add_f32 v[0:1], v[2:3], v[0:1] neg_lo:[0,1] neg_hi:[0,1]
	v_mov_b32_e32 v37, v25
	v_mov_b32_e32 v38, v28
	v_pk_add_f32 v[44:45], v[34:35], v[32:33]
	v_pk_add_f32 v[2:3], v[18:19], v[20:21]
	v_mov_b32_e32 v36, v0
	v_mov_b32_e32 v39, v1
	v_mov_b32_e32 v40, v24
	v_mov_b32_e32 v43, v29
	v_mov_b32_e32 v32, v44
	v_mov_b32_e32 v41, v1
	v_mov_b32_e32 v42, v0
	v_pk_add_f32 v[18:19], v[36:37], v[38:39] neg_lo:[0,1] neg_hi:[0,1]
	v_mov_b32_e32 v38, v27
	v_mov_b32_e32 v39, v3
	v_pk_add_f32 v[20:21], v[40:41], v[42:43] neg_lo:[0,1] neg_hi:[0,1]
	v_pk_add_f32 v[38:39], v[32:33], v[38:39] neg_lo:[0,1] neg_hi:[0,1]
	v_mov_b32_e32 v40, v23
	v_mov_b32_e32 v41, v3
	;; [unrolled: 1-line block ×3, first 2 shown]
	v_pk_add_f32 v[2:3], v[2:3], v[44:45]
	v_pk_add_f32 v[0:1], v[0:1], v[28:29]
	v_pk_mul_f32 v[18:19], v[18:19], s[8:9]
	v_pk_add_f32 v[40:41], v[40:41], v[34:35] neg_lo:[0,1] neg_hi:[0,1]
	v_pk_add_f32 v[4:5], v[2:3], v[4:5]
	v_pk_mul_f32 v[38:39], v[38:39], s[16:17]
	v_pk_add_f32 v[0:1], v[0:1], v[24:25]
	v_pk_mul_f32 v[36:37], v[20:21], s[6:7]
	v_pk_mul_f32 v[42:43], v[40:41], s[18:19]
	v_pk_fma_f32 v[2:3], v[2:3], s[14:15], v[4:5] op_sel_hi:[1,0,1] neg_lo:[1,0,0] neg_hi:[1,0,0]
	v_pk_fma_f32 v[40:41], v[40:41], s[18:19], v[38:39]
	v_pk_fma_f32 v[20:21], v[20:21], s[6:7], v[18:19]
	v_pk_add_f32 v[40:41], v[40:41], v[2:3]
	v_pk_fma_f32 v[20:21], v[0:1], s[2:3], v[20:21] op_sel_hi:[1,0,1]
	v_mov_b32_e32 v34, v27
	v_pk_add_f32 v[44:45], v[40:41], v[20:21]
	v_pk_add_f32 v[20:21], v[40:41], v[20:21] neg_lo:[0,1] neg_hi:[0,1]
	v_mov_b32_e32 v40, v44
	v_mov_b32_e32 v41, v21
	;; [unrolled: 1-line block ×3, first 2 shown]
	ds_write2_b64 v13, v[4:5], v[40:41] offset1:30
	v_pk_add_f32 v[4:5], v[28:29], v[24:25] neg_lo:[0,1] neg_hi:[0,1]
	v_pk_add_f32 v[22:23], v[34:35], v[32:33] neg_lo:[0,1] neg_hi:[0,1]
	v_mov_b32_e32 v24, v42
	v_mov_b32_e32 v25, v39
	;; [unrolled: 1-line block ×6, first 2 shown]
	v_pk_fma_f32 v[24:25], v[22:23], s[12:13], v[24:25] op_sel_hi:[1,0,1] neg_lo:[1,0,1] neg_hi:[1,0,1]
	v_pk_fma_f32 v[26:27], v[4:5], s[10:11], v[26:27] op_sel_hi:[1,0,1] neg_lo:[1,0,1] neg_hi:[1,0,1]
	;; [unrolled: 1-line block ×4, first 2 shown]
	v_pk_add_f32 v[24:25], v[24:25], v[2:3]
	v_pk_fma_f32 v[26:27], v[0:1], s[2:3], v[26:27] op_sel_hi:[1,0,1]
	v_pk_add_f32 v[2:3], v[22:23], v[2:3]
	v_pk_fma_f32 v[0:1], v[0:1], s[2:3], v[4:5] op_sel_hi:[1,0,1]
	v_pk_add_f32 v[28:29], v[24:25], v[26:27]
	v_pk_add_f32 v[24:25], v[24:25], v[26:27] neg_lo:[0,1] neg_hi:[0,1]
	v_pk_add_f32 v[4:5], v[2:3], v[0:1] neg_lo:[0,1] neg_hi:[0,1]
	v_pk_add_f32 v[0:1], v[2:3], v[0:1]
	v_mov_b32_e32 v27, v25
	v_mov_b32_e32 v3, v1
	;; [unrolled: 1-line block ×4, first 2 shown]
	ds_write2_b64 v13, v[0:1], v[24:25] offset0:120 offset1:150
	v_mul_u32_u24_e32 v0, 6, v8
	v_mov_b32_e32 v26, v28
	v_mov_b32_e32 v2, v4
	;; [unrolled: 1-line block ×3, first 2 shown]
	v_lshlrev_b32_e32 v4, 3, v0
	ds_write2_b64 v13, v[26:27], v[2:3] offset0:60 offset1:90
	ds_write_b64 v13, v[20:21] offset:1440
	s_waitcnt lgkmcnt(0)
	s_barrier
	global_load_dwordx4 v[0:3], v4, s[4:5] offset:1680
	global_load_dwordx4 v[18:21], v4, s[4:5] offset:1664
	;; [unrolled: 1-line block ×3, first 2 shown]
	ds_read_b64 v[4:5], v30
	ds_read_b64 v[32:33], v15
	ds_read_b64 v[34:35], v7
	ds_read_b64 v[36:37], v6
	ds_read2_b64 v[26:29], v58 offset0:8 offset1:218
	ds_read_b64 v[38:39], v30 offset:10080
	s_waitcnt lgkmcnt(4)
	v_mov_b32_e32 v40, v33
	s_waitcnt lgkmcnt(3)
	v_mov_b32_e32 v42, v35
	s_waitcnt lgkmcnt(0)
	s_barrier
	s_add_u32 s4, s4, 0x2de0
	s_addc_u32 s5, s5, 0
	s_waitcnt vmcnt(2)
	v_mul_f32_e32 v48, v3, v27
	v_mul_f32_e32 v3, v3, v26
	s_waitcnt vmcnt(1)
	v_pk_mul_f32 v[50:51], v[18:19], v[32:33] op_sel_hi:[1,0]
	v_mul_f32_e32 v44, v0, v36
	v_mul_f32_e32 v46, v1, v37
	;; [unrolled: 1-line block ×4, first 2 shown]
	v_fma_f32 v2, v2, v27, -v3
	v_pk_fma_f32 v[26:27], v[18:19], v[40:41], v[50:51] op_sel:[0,0,1] op_sel_hi:[1,1,0] neg_lo:[0,0,1] neg_hi:[0,0,1]
	v_pk_fma_f32 v[18:19], v[18:19], v[32:33], v[50:51] op_sel:[0,1,1] op_sel_hi:[1,1,0]
	v_fma_f32 v0, v0, v37, -v1
	v_mov_b32_e32 v27, v19
	v_pk_mul_f32 v[18:19], v[20:21], v[34:35] op_sel_hi:[1,0]
	v_mov_b32_e32 v37, v26
	v_pk_fma_f32 v[32:33], v[20:21], v[42:43], v[18:19] op_sel:[0,0,1] op_sel_hi:[1,1,0] neg_lo:[0,0,1] neg_hi:[0,0,1]
	v_pk_fma_f32 v[18:19], v[20:21], v[34:35], v[18:19] op_sel:[0,1,1] op_sel_hi:[1,1,0]
	s_waitcnt vmcnt(0)
	v_pk_mul_f32 v[20:21], v[22:23], v[28:29] op_sel_hi:[1,0]
	v_mov_b32_e32 v18, v29
	v_mov_b32_e32 v33, v19
	v_pk_fma_f32 v[18:19], v[22:23], v[18:19], v[20:21] op_sel:[0,0,1] op_sel_hi:[1,1,0] neg_lo:[0,0,1] neg_hi:[0,0,1]
	v_pk_fma_f32 v[20:21], v[22:23], v[28:29], v[20:21] op_sel:[0,1,1] op_sel_hi:[1,1,0]
	v_pk_mul_f32 v[22:23], v[24:25], v[38:39] op_sel_hi:[1,0]
	v_mov_b32_e32 v20, v39
	v_mov_b32_e32 v19, v21
	v_pk_fma_f32 v[20:21], v[24:25], v[20:21], v[22:23] op_sel:[0,0,1] op_sel_hi:[1,1,0] neg_lo:[0,0,1] neg_hi:[0,0,1]
	v_pk_fma_f32 v[22:23], v[24:25], v[38:39], v[22:23] op_sel:[0,1,1] op_sel_hi:[1,1,0]
	v_mov_b32_e32 v49, v20
	v_mov_b32_e32 v21, v23
	v_mov_b32_e32 v45, v32
	v_mov_b32_e32 v47, v18
	v_pk_add_f32 v[22:23], v[26:27], v[20:21]
	v_pk_add_f32 v[24:25], v[26:27], v[20:21] neg_lo:[0,1] neg_hi:[0,1]
	v_pk_add_f32 v[28:29], v[32:33], v[18:19]
	v_pk_add_f32 v[34:35], v[32:33], v[18:19] neg_lo:[0,1] neg_hi:[0,1]
	v_pk_add_f32 v[20:21], v[36:37], v[48:49]
	v_pk_add_f32 v[18:19], v[44:45], v[46:47]
	v_mov_b32_e32 v3, v20
	v_mov_b32_e32 v1, v18
	v_pk_add_f32 v[26:27], v[2:3], v[0:1] neg_lo:[0,1] neg_hi:[0,1]
	v_mov_b32_e32 v40, v29
	v_mov_b32_e32 v41, v0
	;; [unrolled: 1-line block ×4, first 2 shown]
	v_pk_add_f32 v[0:1], v[40:41], v[0:1]
	v_pk_add_f32 v[2:3], v[18:19], v[20:21]
	v_mov_b32_e32 v32, v26
	v_mov_b32_e32 v33, v25
	;; [unrolled: 1-line block ×6, first 2 shown]
	v_pk_add_f32 v[32:33], v[32:33], v[36:37] neg_lo:[0,1] neg_hi:[0,1]
	v_mov_b32_e32 v36, v24
	v_mov_b32_e32 v38, v26
	;; [unrolled: 1-line block ×3, first 2 shown]
	v_pk_add_f32 v[40:41], v[20:21], v[40:41] neg_lo:[0,1] neg_hi:[0,1]
	v_mov_b32_e32 v42, v23
	v_mov_b32_e32 v43, v1
	;; [unrolled: 1-line block ×3, first 2 shown]
	v_pk_add_f32 v[0:1], v[0:1], v[2:3]
	v_pk_mul_f32 v[32:33], v[32:33], s[8:9]
	v_pk_add_f32 v[36:37], v[36:37], v[38:39] neg_lo:[0,1] neg_hi:[0,1]
	v_pk_add_f32 v[26:27], v[26:27], v[34:35]
	v_pk_add_f32 v[42:43], v[42:43], v[18:19] neg_lo:[0,1] neg_hi:[0,1]
	v_pk_add_f32 v[2:3], v[0:1], v[4:5]
	v_pk_mul_f32 v[4:5], v[40:41], s[16:17]
	v_pk_mul_f32 v[38:39], v[36:37], s[6:7]
	v_pk_add_f32 v[26:27], v[26:27], v[24:25]
	v_pk_mul_f32 v[40:41], v[42:43], s[18:19]
	v_pk_fma_f32 v[0:1], v[0:1], s[14:15], v[2:3] op_sel_hi:[1,0,1] neg_lo:[1,0,0] neg_hi:[1,0,0]
	v_pk_fma_f32 v[42:43], v[42:43], s[18:19], v[4:5]
	v_pk_fma_f32 v[36:37], v[36:37], s[6:7], v[32:33]
	v_pk_add_f32 v[42:43], v[42:43], v[0:1]
	v_pk_fma_f32 v[36:37], v[26:27], s[2:3], v[36:37] op_sel_hi:[1,0,1]
	v_mov_b32_e32 v18, v29
	v_pk_add_f32 v[44:45], v[42:43], v[36:37]
	v_pk_add_f32 v[36:37], v[42:43], v[36:37] neg_lo:[0,1] neg_hi:[0,1]
	v_mov_b32_e32 v42, v44
	v_mov_b32_e32 v43, v37
	;; [unrolled: 1-line block ×3, first 2 shown]
	ds_write2_b64 v30, v[2:3], v[42:43] offset1:210
	v_pk_add_f32 v[2:3], v[34:35], v[24:25] neg_lo:[0,1] neg_hi:[0,1]
	v_pk_add_f32 v[18:19], v[18:19], v[20:21] neg_lo:[0,1] neg_hi:[0,1]
	v_mov_b32_e32 v20, v40
	v_mov_b32_e32 v21, v5
	;; [unrolled: 1-line block ×6, first 2 shown]
	v_pk_fma_f32 v[20:21], v[18:19], s[12:13], v[20:21] op_sel_hi:[1,0,1] neg_lo:[1,0,1] neg_hi:[1,0,1]
	v_pk_fma_f32 v[22:23], v[2:3], s[10:11], v[22:23] op_sel_hi:[1,0,1] neg_lo:[1,0,1] neg_hi:[1,0,1]
	v_pk_fma_f32 v[4:5], v[18:19], s[12:13], v[4:5] op_sel_hi:[1,0,1] neg_lo:[0,0,1] neg_hi:[0,0,1]
	v_pk_fma_f32 v[2:3], v[2:3], s[10:11], v[32:33] op_sel_hi:[1,0,1] neg_lo:[0,0,1] neg_hi:[0,0,1]
	v_pk_add_f32 v[20:21], v[20:21], v[0:1]
	v_pk_fma_f32 v[22:23], v[26:27], s[2:3], v[22:23] op_sel_hi:[1,0,1]
	v_pk_add_f32 v[0:1], v[4:5], v[0:1]
	v_pk_fma_f32 v[2:3], v[26:27], s[2:3], v[2:3] op_sel_hi:[1,0,1]
	v_pk_add_f32 v[24:25], v[20:21], v[22:23]
	v_pk_add_f32 v[20:21], v[20:21], v[22:23] neg_lo:[0,1] neg_hi:[0,1]
	v_pk_add_f32 v[4:5], v[0:1], v[2:3] neg_lo:[0,1] neg_hi:[0,1]
	v_pk_add_f32 v[0:1], v[0:1], v[2:3]
	v_mov_b32_e32 v22, v24
	v_mov_b32_e32 v23, v21
	;; [unrolled: 1-line block ×4, first 2 shown]
	v_add_u32_e32 v1, 0xc00, v30
	ds_write2_b64 v1, v[22:23], v[2:3] offset0:36 offset1:246
	v_mov_b32_e32 v1, v5
	v_mov_b32_e32 v21, v25
	;; [unrolled: 1-line block ×3, first 2 shown]
	ds_write2_b64 v58, v[0:1], v[20:21] offset0:8 offset1:218
	ds_write_b64 v30, v[36:37] offset:10080
	s_waitcnt lgkmcnt(0)
	s_barrier
	ds_read_b64 v[4:5], v30
	v_sub_u32_e32 v18, 0, v9
	v_cmp_ne_u32_e64 s[2:3], 0, v8
                                        ; implicit-def: $vgpr2_vgpr3
                                        ; implicit-def: $vgpr1
	s_and_saveexec_b64 s[6:7], s[2:3]
	s_xor_b64 s[2:3], exec, s[6:7]
	s_cbranch_execz .LBB0_25
; %bb.24:
	v_mov_b32_e32 v9, 0
	v_lshl_add_u64 v[0:1], v[8:9], 3, s[4:5]
	global_load_dwordx2 v[2:3], v[0:1], off
	ds_read_b64 v[0:1], v18 offset:11760
	v_mov_b32_e32 v21, 0.5
	v_mov_b32_e32 v22, v21
	s_waitcnt lgkmcnt(0)
	v_pk_add_f32 v[24:25], v[0:1], v[4:5]
	v_pk_add_f32 v[0:1], v[4:5], v[0:1] neg_lo:[0,1] neg_hi:[0,1]
	v_mov_b32_e32 v4, v25
	v_mov_b32_e32 v5, v0
	v_pk_mul_f32 v[4:5], v[4:5], 0.5 op_sel_hi:[1,0]
	s_waitcnt vmcnt(0)
	v_mov_b32_e32 v20, v3
	v_mov_b32_e32 v0, v5
	;; [unrolled: 1-line block ×4, first 2 shown]
	v_pk_mul_f32 v[0:1], v[20:21], v[0:1]
	v_pk_mul_f32 v[26:27], v[2:3], v[4:5] op_sel_hi:[0,1]
	v_pk_fma_f32 v[20:21], v[24:25], v[22:23], v[0:1]
	v_pk_fma_f32 v[22:23], v[24:25], v[22:23], v[0:1] neg_lo:[0,0,1] neg_hi:[0,0,1]
	v_add_f32_e32 v0, v26, v20
	v_sub_f32_e32 v1, v21, v27
	ds_write_b32 v30, v0
	v_pk_fma_f32 v[2:3], v[2:3], v[4:5], v[22:23] op_sel_hi:[0,1,1] neg_lo:[1,0,0] neg_hi:[1,0,0]
                                        ; implicit-def: $vgpr4_vgpr5
.LBB0_25:
	s_andn2_saveexec_b64 s[2:3], s[2:3]
	s_cbranch_execz .LBB0_27
; %bb.26:
	s_waitcnt lgkmcnt(0)
	v_mov_b32_e32 v0, v5
	v_pk_add_f32 v[0:1], v[4:5], v[0:1] neg_lo:[0,1] neg_hi:[0,1]
	v_add_f32_e32 v3, v5, v4
	v_mov_b32_e32 v1, 0
	ds_read_b32 v2, v1 offset:5884
	ds_write_b32 v30, v3
	s_waitcnt lgkmcnt(1)
	v_xor_b32_e32 v2, 0x80000000, v2
	ds_write_b32 v1, v2 offset:5884
	v_mov_b64_e32 v[2:3], v[0:1]
.LBB0_27:
	s_or_b64 exec, exec, s[2:3]
	v_mov_b32_e32 v13, 0
	s_waitcnt lgkmcnt(0)
	v_lshl_add_u64 v[4:5], v[12:13], 3, s[4:5]
	global_load_dwordx2 v[4:5], v[4:5], off
	v_mov_b32_e32 v17, v13
	v_lshl_add_u64 v[16:17], v[16:17], 3, s[4:5]
	global_load_dwordx2 v[16:17], v[16:17], off
	ds_write_b32 v30, v1 offset:4
	ds_write_b64 v18, v[2:3] offset:11760
	ds_read_b64 v[2:3], v15
	ds_read_b64 v[20:21], v18 offset:10080
	v_mov_b32_e32 v1, 0.5
	v_mov_b32_e32 v22, v1
	s_waitcnt lgkmcnt(0)
	v_pk_add_f32 v[24:25], v[2:3], v[20:21]
	v_pk_add_f32 v[2:3], v[2:3], v[20:21] neg_lo:[0,1] neg_hi:[0,1]
	v_mov_b32_e32 v20, v25
	v_mov_b32_e32 v21, v2
	v_pk_mul_f32 v[20:21], v[20:21], 0.5 op_sel_hi:[1,0]
	s_waitcnt vmcnt(1)
	v_mov_b32_e32 v0, v5
	v_mov_b32_e32 v2, v21
	;; [unrolled: 1-line block ×4, first 2 shown]
	v_pk_mul_f32 v[2:3], v[0:1], v[2:3]
	s_waitcnt vmcnt(0)
	v_mov_b32_e32 v0, v17
	v_pk_fma_f32 v[26:27], v[24:25], v[22:23], v[2:3]
	v_pk_fma_f32 v[2:3], v[24:25], v[22:23], v[2:3] neg_lo:[0,0,1] neg_hi:[0,0,1]
	v_pk_fma_f32 v[22:23], v[4:5], v[20:21], v[26:27]
	v_pk_fma_f32 v[24:25], v[4:5], v[20:21], v[26:27] op_sel_hi:[0,1,1] neg_lo:[1,0,0] neg_hi:[1,0,0]
	v_mov_b32_e32 v23, v25
	v_pk_fma_f32 v[2:3], v[4:5], v[20:21], v[2:3] op_sel_hi:[0,1,1] neg_lo:[1,0,0] neg_hi:[1,0,0]
	ds_write_b64 v15, v[22:23]
	ds_write_b64 v18, v[2:3] offset:10080
	ds_read_b64 v[2:3], v7
	ds_read_b64 v[4:5], v18 offset:8400
	v_mov_b32_e32 v20, v1
	v_mov_b32_e32 v21, v17
	s_waitcnt lgkmcnt(0)
	v_pk_add_f32 v[22:23], v[2:3], v[4:5]
	v_pk_add_f32 v[2:3], v[2:3], v[4:5] neg_lo:[0,1] neg_hi:[0,1]
	v_mov_b32_e32 v4, v23
	v_mov_b32_e32 v5, v2
	v_pk_mul_f32 v[4:5], v[4:5], 0.5 op_sel_hi:[1,0]
	s_nop 0
	v_mov_b32_e32 v2, v5
	v_mov_b32_e32 v23, v4
	v_pk_mul_f32 v[2:3], v[0:1], v[2:3]
	s_nop 0
	v_pk_fma_f32 v[24:25], v[22:23], v[20:21], v[2:3]
	v_pk_fma_f32 v[2:3], v[22:23], v[20:21], v[2:3] neg_lo:[0,0,1] neg_hi:[0,0,1]
	v_pk_fma_f32 v[20:21], v[16:17], v[4:5], v[24:25]
	v_pk_fma_f32 v[22:23], v[16:17], v[4:5], v[24:25] op_sel_hi:[0,1,1] neg_lo:[1,0,0] neg_hi:[1,0,0]
	v_mov_b32_e32 v21, v23
	v_pk_fma_f32 v[2:3], v[16:17], v[4:5], v[2:3] op_sel_hi:[0,1,1] neg_lo:[1,0,0] neg_hi:[1,0,0]
	ds_write_b64 v7, v[20:21]
	ds_write_b64 v18, v[2:3] offset:8400
	s_and_saveexec_b64 s[2:3], vcc
	s_cbranch_execz .LBB0_29
; %bb.28:
	v_mov_b32_e32 v15, v13
	v_lshl_add_u64 v[2:3], v[14:15], 3, s[4:5]
	global_load_dwordx2 v[2:3], v[2:3], off
	ds_read_b64 v[4:5], v6
	ds_read_b64 v[12:13], v18 offset:6720
	v_mov_b32_e32 v14, v1
	s_waitcnt lgkmcnt(0)
	v_pk_add_f32 v[16:17], v[4:5], v[12:13]
	v_pk_add_f32 v[4:5], v[4:5], v[12:13] neg_lo:[0,1] neg_hi:[0,1]
	v_mov_b32_e32 v12, v17
	v_mov_b32_e32 v13, v4
	v_pk_mul_f32 v[12:13], v[12:13], 0.5 op_sel_hi:[1,0]
	s_waitcnt vmcnt(0)
	v_mov_b32_e32 v0, v3
	v_mov_b32_e32 v4, v13
	;; [unrolled: 1-line block ×4, first 2 shown]
	v_pk_mul_f32 v[0:1], v[0:1], v[4:5]
	s_nop 0
	v_pk_fma_f32 v[4:5], v[16:17], v[14:15], v[0:1]
	v_pk_fma_f32 v[0:1], v[16:17], v[14:15], v[0:1] neg_lo:[0,0,1] neg_hi:[0,0,1]
	v_pk_fma_f32 v[14:15], v[2:3], v[12:13], v[4:5]
	v_pk_fma_f32 v[4:5], v[2:3], v[12:13], v[4:5] op_sel_hi:[0,1,1] neg_lo:[1,0,0] neg_hi:[1,0,0]
	v_mov_b32_e32 v15, v5
	v_pk_fma_f32 v[0:1], v[2:3], v[12:13], v[0:1] op_sel_hi:[0,1,1] neg_lo:[1,0,0] neg_hi:[1,0,0]
	ds_write_b64 v6, v[14:15]
	ds_write_b64 v18, v[0:1] offset:6720
.LBB0_29:
	s_or_b64 exec, exec, s[2:3]
	s_waitcnt lgkmcnt(0)
	s_barrier
	s_and_saveexec_b64 s[2:3], s[0:1]
	s_cbranch_execz .LBB0_32
; %bb.30:
	ds_read2_b64 v[0:3], v30 offset1:210
	v_add_u32_e32 v4, 0xc00, v30
	ds_read2_b64 v[4:7], v4 offset0:36 offset1:246
	v_mov_b32_e32 v9, 0
	v_lshl_add_u64 v[12:13], v[8:9], 3, v[10:11]
	s_waitcnt lgkmcnt(1)
	global_store_dwordx2 v[12:13], v[0:1], off
	global_store_dwordx2 v[12:13], v[2:3], off offset:1680
	s_waitcnt lgkmcnt(0)
	global_store_dwordx2 v[12:13], v[4:5], off offset:3360
	v_add_u32_e32 v0, 0x1a00, v30
	ds_read2_b64 v[0:3], v0 offset0:8 offset1:218
	v_add_co_u32_e32 v4, vcc, 0x1000, v12
	s_movk_i32 s0, 0xd1
	s_nop 0
	v_addc_co_u32_e32 v5, vcc, 0, v13, vcc
	global_store_dwordx2 v[4:5], v[6:7], off offset:944
	s_waitcnt lgkmcnt(0)
	global_store_dwordx2 v[4:5], v[0:1], off offset:2624
	ds_read_b64 v[4:5], v30 offset:10080
	v_add_co_u32_e32 v0, vcc, 0x2000, v12
	s_nop 1
	v_addc_co_u32_e32 v1, vcc, 0, v13, vcc
	v_cmp_eq_u32_e32 vcc, s0, v8
	global_store_dwordx2 v[0:1], v[2:3], off offset:208
	s_waitcnt lgkmcnt(0)
	global_store_dwordx2 v[0:1], v[4:5], off offset:1888
	s_and_b64 exec, exec, vcc
	s_cbranch_execz .LBB0_32
; %bb.31:
	ds_read_b64 v[0:1], v9 offset:11760
	v_add_co_u32_e32 v2, vcc, 0x2000, v10
	s_nop 1
	v_addc_co_u32_e32 v3, vcc, 0, v11, vcc
	s_waitcnt lgkmcnt(0)
	global_store_dwordx2 v[2:3], v[0:1], off offset:3568
.LBB0_32:
	s_endpgm
	.section	.rodata,"a",@progbits
	.p2align	6, 0x0
	.amdhsa_kernel fft_rtc_back_len1470_factors_2_3_5_7_7_wgs_210_tpt_210_halfLds_sp_ip_CI_unitstride_sbrr_R2C_dirReg
		.amdhsa_group_segment_fixed_size 0
		.amdhsa_private_segment_fixed_size 0
		.amdhsa_kernarg_size 88
		.amdhsa_user_sgpr_count 2
		.amdhsa_user_sgpr_dispatch_ptr 0
		.amdhsa_user_sgpr_queue_ptr 0
		.amdhsa_user_sgpr_kernarg_segment_ptr 1
		.amdhsa_user_sgpr_dispatch_id 0
		.amdhsa_user_sgpr_kernarg_preload_length 0
		.amdhsa_user_sgpr_kernarg_preload_offset 0
		.amdhsa_user_sgpr_private_segment_size 0
		.amdhsa_uses_dynamic_stack 0
		.amdhsa_enable_private_segment 0
		.amdhsa_system_sgpr_workgroup_id_x 1
		.amdhsa_system_sgpr_workgroup_id_y 0
		.amdhsa_system_sgpr_workgroup_id_z 0
		.amdhsa_system_sgpr_workgroup_info 0
		.amdhsa_system_vgpr_workitem_id 0
		.amdhsa_next_free_vgpr 59
		.amdhsa_next_free_sgpr 22
		.amdhsa_accum_offset 60
		.amdhsa_reserve_vcc 1
		.amdhsa_float_round_mode_32 0
		.amdhsa_float_round_mode_16_64 0
		.amdhsa_float_denorm_mode_32 3
		.amdhsa_float_denorm_mode_16_64 3
		.amdhsa_dx10_clamp 1
		.amdhsa_ieee_mode 1
		.amdhsa_fp16_overflow 0
		.amdhsa_tg_split 0
		.amdhsa_exception_fp_ieee_invalid_op 0
		.amdhsa_exception_fp_denorm_src 0
		.amdhsa_exception_fp_ieee_div_zero 0
		.amdhsa_exception_fp_ieee_overflow 0
		.amdhsa_exception_fp_ieee_underflow 0
		.amdhsa_exception_fp_ieee_inexact 0
		.amdhsa_exception_int_div_zero 0
	.end_amdhsa_kernel
	.text
.Lfunc_end0:
	.size	fft_rtc_back_len1470_factors_2_3_5_7_7_wgs_210_tpt_210_halfLds_sp_ip_CI_unitstride_sbrr_R2C_dirReg, .Lfunc_end0-fft_rtc_back_len1470_factors_2_3_5_7_7_wgs_210_tpt_210_halfLds_sp_ip_CI_unitstride_sbrr_R2C_dirReg
                                        ; -- End function
	.section	.AMDGPU.csdata,"",@progbits
; Kernel info:
; codeLenInByte = 6444
; NumSgprs: 28
; NumVgprs: 59
; NumAgprs: 0
; TotalNumVgprs: 59
; ScratchSize: 0
; MemoryBound: 0
; FloatMode: 240
; IeeeMode: 1
; LDSByteSize: 0 bytes/workgroup (compile time only)
; SGPRBlocks: 3
; VGPRBlocks: 7
; NumSGPRsForWavesPerEU: 28
; NumVGPRsForWavesPerEU: 59
; AccumOffset: 60
; Occupancy: 8
; WaveLimiterHint : 1
; COMPUTE_PGM_RSRC2:SCRATCH_EN: 0
; COMPUTE_PGM_RSRC2:USER_SGPR: 2
; COMPUTE_PGM_RSRC2:TRAP_HANDLER: 0
; COMPUTE_PGM_RSRC2:TGID_X_EN: 1
; COMPUTE_PGM_RSRC2:TGID_Y_EN: 0
; COMPUTE_PGM_RSRC2:TGID_Z_EN: 0
; COMPUTE_PGM_RSRC2:TIDIG_COMP_CNT: 0
; COMPUTE_PGM_RSRC3_GFX90A:ACCUM_OFFSET: 14
; COMPUTE_PGM_RSRC3_GFX90A:TG_SPLIT: 0
	.text
	.p2alignl 6, 3212836864
	.fill 256, 4, 3212836864
	.type	__hip_cuid_48582c6c61daca7b,@object ; @__hip_cuid_48582c6c61daca7b
	.section	.bss,"aw",@nobits
	.globl	__hip_cuid_48582c6c61daca7b
__hip_cuid_48582c6c61daca7b:
	.byte	0                               ; 0x0
	.size	__hip_cuid_48582c6c61daca7b, 1

	.ident	"AMD clang version 19.0.0git (https://github.com/RadeonOpenCompute/llvm-project roc-6.4.0 25133 c7fe45cf4b819c5991fe208aaa96edf142730f1d)"
	.section	".note.GNU-stack","",@progbits
	.addrsig
	.addrsig_sym __hip_cuid_48582c6c61daca7b
	.amdgpu_metadata
---
amdhsa.kernels:
  - .agpr_count:     0
    .args:
      - .actual_access:  read_only
        .address_space:  global
        .offset:         0
        .size:           8
        .value_kind:     global_buffer
      - .offset:         8
        .size:           8
        .value_kind:     by_value
      - .actual_access:  read_only
        .address_space:  global
        .offset:         16
        .size:           8
        .value_kind:     global_buffer
      - .actual_access:  read_only
        .address_space:  global
        .offset:         24
        .size:           8
        .value_kind:     global_buffer
      - .offset:         32
        .size:           8
        .value_kind:     by_value
      - .actual_access:  read_only
        .address_space:  global
        .offset:         40
        .size:           8
        .value_kind:     global_buffer
      - .actual_access:  read_only
        .address_space:  global
        .offset:         48
        .size:           8
        .value_kind:     global_buffer
      - .offset:         56
        .size:           4
        .value_kind:     by_value
      - .actual_access:  read_only
        .address_space:  global
        .offset:         64
        .size:           8
        .value_kind:     global_buffer
      - .actual_access:  read_only
        .address_space:  global
        .offset:         72
        .size:           8
        .value_kind:     global_buffer
      - .address_space:  global
        .offset:         80
        .size:           8
        .value_kind:     global_buffer
    .group_segment_fixed_size: 0
    .kernarg_segment_align: 8
    .kernarg_segment_size: 88
    .language:       OpenCL C
    .language_version:
      - 2
      - 0
    .max_flat_workgroup_size: 210
    .name:           fft_rtc_back_len1470_factors_2_3_5_7_7_wgs_210_tpt_210_halfLds_sp_ip_CI_unitstride_sbrr_R2C_dirReg
    .private_segment_fixed_size: 0
    .sgpr_count:     28
    .sgpr_spill_count: 0
    .symbol:         fft_rtc_back_len1470_factors_2_3_5_7_7_wgs_210_tpt_210_halfLds_sp_ip_CI_unitstride_sbrr_R2C_dirReg.kd
    .uniform_work_group_size: 1
    .uses_dynamic_stack: false
    .vgpr_count:     59
    .vgpr_spill_count: 0
    .wavefront_size: 64
amdhsa.target:   amdgcn-amd-amdhsa--gfx950
amdhsa.version:
  - 1
  - 2
...

	.end_amdgpu_metadata
